;; amdgpu-corpus repo=ROCm/rocFFT kind=compiled arch=gfx906 opt=O3
	.text
	.amdgcn_target "amdgcn-amd-amdhsa--gfx906"
	.amdhsa_code_object_version 6
	.protected	fft_rtc_fwd_len1024_factors_8_8_4_4_wgs_128_tpt_128_halfLds_half_ip_CI_unitstride_sbrr_C2R_dirReg ; -- Begin function fft_rtc_fwd_len1024_factors_8_8_4_4_wgs_128_tpt_128_halfLds_half_ip_CI_unitstride_sbrr_C2R_dirReg
	.globl	fft_rtc_fwd_len1024_factors_8_8_4_4_wgs_128_tpt_128_halfLds_half_ip_CI_unitstride_sbrr_C2R_dirReg
	.p2align	8
	.type	fft_rtc_fwd_len1024_factors_8_8_4_4_wgs_128_tpt_128_halfLds_half_ip_CI_unitstride_sbrr_C2R_dirReg,@function
fft_rtc_fwd_len1024_factors_8_8_4_4_wgs_128_tpt_128_halfLds_half_ip_CI_unitstride_sbrr_C2R_dirReg: ; @fft_rtc_fwd_len1024_factors_8_8_4_4_wgs_128_tpt_128_halfLds_half_ip_CI_unitstride_sbrr_C2R_dirReg
; %bb.0:
	s_load_dwordx4 s[8:11], s[4:5], 0x0
	s_load_dwordx2 s[2:3], s[4:5], 0x50
	s_load_dwordx2 s[12:13], s[4:5], 0x18
	v_mov_b32_e32 v3, 0
	v_mov_b32_e32 v1, 0
	s_waitcnt lgkmcnt(0)
	v_cmp_lt_u64_e64 s[0:1], s[10:11], 2
	v_mov_b32_e32 v5, s6
	v_mov_b32_e32 v6, v3
	s_and_b64 vcc, exec, s[0:1]
	v_mov_b32_e32 v2, 0
	s_cbranch_vccnz .LBB0_8
; %bb.1:
	s_load_dwordx2 s[0:1], s[4:5], 0x10
	s_add_u32 s6, s12, 8
	s_addc_u32 s7, s13, 0
	v_mov_b32_e32 v1, 0
	v_mov_b32_e32 v2, 0
	s_waitcnt lgkmcnt(0)
	s_add_u32 s14, s0, 8
	s_addc_u32 s15, s1, 0
	s_mov_b64 s[16:17], 1
.LBB0_2:                                ; =>This Inner Loop Header: Depth=1
	s_load_dwordx2 s[18:19], s[14:15], 0x0
                                        ; implicit-def: $vgpr7_vgpr8
	s_waitcnt lgkmcnt(0)
	v_or_b32_e32 v4, s19, v6
	v_cmp_ne_u64_e32 vcc, 0, v[3:4]
	s_and_saveexec_b64 s[0:1], vcc
	s_xor_b64 s[20:21], exec, s[0:1]
	s_cbranch_execz .LBB0_4
; %bb.3:                                ;   in Loop: Header=BB0_2 Depth=1
	v_cvt_f32_u32_e32 v4, s18
	v_cvt_f32_u32_e32 v7, s19
	s_sub_u32 s0, 0, s18
	s_subb_u32 s1, 0, s19
	v_mac_f32_e32 v4, 0x4f800000, v7
	v_rcp_f32_e32 v4, v4
	v_mul_f32_e32 v4, 0x5f7ffffc, v4
	v_mul_f32_e32 v7, 0x2f800000, v4
	v_trunc_f32_e32 v7, v7
	v_mac_f32_e32 v4, 0xcf800000, v7
	v_cvt_u32_f32_e32 v7, v7
	v_cvt_u32_f32_e32 v4, v4
	v_mul_lo_u32 v8, s0, v7
	v_mul_hi_u32 v9, s0, v4
	v_mul_lo_u32 v11, s1, v4
	v_mul_lo_u32 v10, s0, v4
	v_add_u32_e32 v8, v9, v8
	v_add_u32_e32 v8, v8, v11
	v_mul_hi_u32 v9, v4, v10
	v_mul_lo_u32 v11, v4, v8
	v_mul_hi_u32 v13, v4, v8
	v_mul_hi_u32 v12, v7, v10
	v_mul_lo_u32 v10, v7, v10
	v_mul_hi_u32 v14, v7, v8
	v_add_co_u32_e32 v9, vcc, v9, v11
	v_addc_co_u32_e32 v11, vcc, 0, v13, vcc
	v_mul_lo_u32 v8, v7, v8
	v_add_co_u32_e32 v9, vcc, v9, v10
	v_addc_co_u32_e32 v9, vcc, v11, v12, vcc
	v_addc_co_u32_e32 v10, vcc, 0, v14, vcc
	v_add_co_u32_e32 v8, vcc, v9, v8
	v_addc_co_u32_e32 v9, vcc, 0, v10, vcc
	v_add_co_u32_e32 v4, vcc, v4, v8
	v_addc_co_u32_e32 v7, vcc, v7, v9, vcc
	v_mul_lo_u32 v8, s0, v7
	v_mul_hi_u32 v9, s0, v4
	v_mul_lo_u32 v10, s1, v4
	v_mul_lo_u32 v11, s0, v4
	v_add_u32_e32 v8, v9, v8
	v_add_u32_e32 v8, v8, v10
	v_mul_lo_u32 v12, v4, v8
	v_mul_hi_u32 v13, v4, v11
	v_mul_hi_u32 v14, v4, v8
	;; [unrolled: 1-line block ×3, first 2 shown]
	v_mul_lo_u32 v11, v7, v11
	v_mul_hi_u32 v9, v7, v8
	v_add_co_u32_e32 v12, vcc, v13, v12
	v_addc_co_u32_e32 v13, vcc, 0, v14, vcc
	v_mul_lo_u32 v8, v7, v8
	v_add_co_u32_e32 v11, vcc, v12, v11
	v_addc_co_u32_e32 v10, vcc, v13, v10, vcc
	v_addc_co_u32_e32 v9, vcc, 0, v9, vcc
	v_add_co_u32_e32 v8, vcc, v10, v8
	v_addc_co_u32_e32 v9, vcc, 0, v9, vcc
	v_add_co_u32_e32 v4, vcc, v4, v8
	v_addc_co_u32_e32 v9, vcc, v7, v9, vcc
	v_mad_u64_u32 v[7:8], s[0:1], v5, v9, 0
	v_mul_hi_u32 v10, v5, v4
	v_add_co_u32_e32 v11, vcc, v10, v7
	v_addc_co_u32_e32 v12, vcc, 0, v8, vcc
	v_mad_u64_u32 v[7:8], s[0:1], v6, v4, 0
	v_mad_u64_u32 v[9:10], s[0:1], v6, v9, 0
	v_add_co_u32_e32 v4, vcc, v11, v7
	v_addc_co_u32_e32 v4, vcc, v12, v8, vcc
	v_addc_co_u32_e32 v7, vcc, 0, v10, vcc
	v_add_co_u32_e32 v4, vcc, v4, v9
	v_addc_co_u32_e32 v9, vcc, 0, v7, vcc
	v_mul_lo_u32 v10, s19, v4
	v_mul_lo_u32 v11, s18, v9
	v_mad_u64_u32 v[7:8], s[0:1], s18, v4, 0
	v_add3_u32 v8, v8, v11, v10
	v_sub_u32_e32 v10, v6, v8
	v_mov_b32_e32 v11, s19
	v_sub_co_u32_e32 v7, vcc, v5, v7
	v_subb_co_u32_e64 v10, s[0:1], v10, v11, vcc
	v_subrev_co_u32_e64 v11, s[0:1], s18, v7
	v_subbrev_co_u32_e64 v10, s[0:1], 0, v10, s[0:1]
	v_cmp_le_u32_e64 s[0:1], s19, v10
	v_cndmask_b32_e64 v12, 0, -1, s[0:1]
	v_cmp_le_u32_e64 s[0:1], s18, v11
	v_cndmask_b32_e64 v11, 0, -1, s[0:1]
	v_cmp_eq_u32_e64 s[0:1], s19, v10
	v_cndmask_b32_e64 v10, v12, v11, s[0:1]
	v_add_co_u32_e64 v11, s[0:1], 2, v4
	v_addc_co_u32_e64 v12, s[0:1], 0, v9, s[0:1]
	v_add_co_u32_e64 v13, s[0:1], 1, v4
	v_addc_co_u32_e64 v14, s[0:1], 0, v9, s[0:1]
	v_subb_co_u32_e32 v8, vcc, v6, v8, vcc
	v_cmp_ne_u32_e64 s[0:1], 0, v10
	v_cmp_le_u32_e32 vcc, s19, v8
	v_cndmask_b32_e64 v10, v14, v12, s[0:1]
	v_cndmask_b32_e64 v12, 0, -1, vcc
	v_cmp_le_u32_e32 vcc, s18, v7
	v_cndmask_b32_e64 v7, 0, -1, vcc
	v_cmp_eq_u32_e32 vcc, s19, v8
	v_cndmask_b32_e32 v7, v12, v7, vcc
	v_cmp_ne_u32_e32 vcc, 0, v7
	v_cndmask_b32_e64 v7, v13, v11, s[0:1]
	v_cndmask_b32_e32 v8, v9, v10, vcc
	v_cndmask_b32_e32 v7, v4, v7, vcc
.LBB0_4:                                ;   in Loop: Header=BB0_2 Depth=1
	s_andn2_saveexec_b64 s[0:1], s[20:21]
	s_cbranch_execz .LBB0_6
; %bb.5:                                ;   in Loop: Header=BB0_2 Depth=1
	v_cvt_f32_u32_e32 v4, s18
	s_sub_i32 s20, 0, s18
	v_rcp_iflag_f32_e32 v4, v4
	v_mul_f32_e32 v4, 0x4f7ffffe, v4
	v_cvt_u32_f32_e32 v4, v4
	v_mul_lo_u32 v7, s20, v4
	v_mul_hi_u32 v7, v4, v7
	v_add_u32_e32 v4, v4, v7
	v_mul_hi_u32 v4, v5, v4
	v_mul_lo_u32 v7, v4, s18
	v_add_u32_e32 v8, 1, v4
	v_sub_u32_e32 v7, v5, v7
	v_subrev_u32_e32 v9, s18, v7
	v_cmp_le_u32_e32 vcc, s18, v7
	v_cndmask_b32_e32 v7, v7, v9, vcc
	v_cndmask_b32_e32 v4, v4, v8, vcc
	v_add_u32_e32 v8, 1, v4
	v_cmp_le_u32_e32 vcc, s18, v7
	v_cndmask_b32_e32 v7, v4, v8, vcc
	v_mov_b32_e32 v8, v3
.LBB0_6:                                ;   in Loop: Header=BB0_2 Depth=1
	s_or_b64 exec, exec, s[0:1]
	v_mul_lo_u32 v4, v8, s18
	v_mul_lo_u32 v11, v7, s19
	v_mad_u64_u32 v[9:10], s[0:1], v7, s18, 0
	s_load_dwordx2 s[0:1], s[6:7], 0x0
	s_add_u32 s16, s16, 1
	v_add3_u32 v4, v10, v11, v4
	v_sub_co_u32_e32 v5, vcc, v5, v9
	v_subb_co_u32_e32 v4, vcc, v6, v4, vcc
	s_waitcnt lgkmcnt(0)
	v_mul_lo_u32 v4, s0, v4
	v_mul_lo_u32 v6, s1, v5
	v_mad_u64_u32 v[1:2], s[0:1], s0, v5, v[1:2]
	s_addc_u32 s17, s17, 0
	s_add_u32 s6, s6, 8
	v_add3_u32 v2, v6, v2, v4
	v_mov_b32_e32 v4, s10
	v_mov_b32_e32 v5, s11
	s_addc_u32 s7, s7, 0
	v_cmp_ge_u64_e32 vcc, s[16:17], v[4:5]
	s_add_u32 s14, s14, 8
	s_addc_u32 s15, s15, 0
	s_cbranch_vccnz .LBB0_9
; %bb.7:                                ;   in Loop: Header=BB0_2 Depth=1
	v_mov_b32_e32 v5, v7
	v_mov_b32_e32 v6, v8
	s_branch .LBB0_2
.LBB0_8:
	v_mov_b32_e32 v8, v6
	v_mov_b32_e32 v7, v5
.LBB0_9:
	s_lshl_b64 s[0:1], s[10:11], 3
	s_add_u32 s0, s12, s0
	s_addc_u32 s1, s13, s1
	s_load_dwordx2 s[6:7], s[0:1], 0x0
	s_load_dwordx2 s[10:11], s[4:5], 0x20
	s_waitcnt lgkmcnt(0)
	v_mul_lo_u32 v3, s6, v8
	v_mul_lo_u32 v4, s7, v7
	v_mad_u64_u32 v[1:2], s[0:1], s6, v7, v[1:2]
	v_cmp_gt_u64_e32 vcc, s[10:11], v[7:8]
	v_lshlrev_b32_e32 v7, 2, v0
	v_add3_u32 v2, v4, v2, v3
	v_lshlrev_b64 v[3:4], 2, v[1:2]
	v_mov_b32_e32 v1, v0
	s_and_saveexec_b64 s[4:5], vcc
	s_cbranch_execz .LBB0_13
; %bb.10:
	v_mov_b32_e32 v1, s3
	v_add_co_u32_e64 v5, s[0:1], s2, v3
	v_addc_co_u32_e64 v6, s[0:1], v1, v4, s[0:1]
	v_add_co_u32_e64 v1, s[0:1], v5, v7
	v_addc_co_u32_e64 v2, s[0:1], 0, v6, s[0:1]
	global_load_dword v8, v[1:2], off
	global_load_dword v9, v[1:2], off offset:512
	global_load_dword v10, v[1:2], off offset:1024
	;; [unrolled: 1-line block ×6, first 2 shown]
	v_mov_b32_e32 v1, 0xe00
	v_lshl_or_b32 v1, v0, 2, v1
	v_add_co_u32_e64 v5, s[0:1], v5, v1
	v_addc_co_u32_e64 v6, s[0:1], 0, v6, s[0:1]
	global_load_dword v15, v[5:6], off
	s_movk_i32 s0, 0x7f
	v_add_u32_e32 v16, 0, v7
	v_cmp_eq_u32_e64 s[0:1], s0, v0
	v_add_u32_e32 v2, 0, v1
	v_mov_b32_e32 v1, v0
	s_waitcnt vmcnt(6)
	ds_write2st64_b32 v16, v8, v9 offset1:2
	s_waitcnt vmcnt(4)
	ds_write2st64_b32 v16, v10, v11 offset0:4 offset1:6
	s_waitcnt vmcnt(2)
	ds_write2st64_b32 v16, v12, v13 offset0:8 offset1:10
	s_waitcnt vmcnt(1)
	ds_write_b32 v16, v14 offset:3072
	s_waitcnt vmcnt(0)
	ds_write_b32 v2, v15
	s_and_saveexec_b64 s[6:7], s[0:1]
	s_cbranch_execz .LBB0_12
; %bb.11:
	global_load_dword v1, v[5:6], off offset:4
	s_waitcnt vmcnt(0)
	ds_write_b32 v2, v1 offset:4
	v_mov_b32_e32 v1, 0x7f
.LBB0_12:
	s_or_b64 exec, exec, s[6:7]
.LBB0_13:
	s_or_b64 exec, exec, s[4:5]
	v_lshlrev_b32_e32 v2, 2, v1
	v_add_u32_e32 v8, 0, v2
	s_waitcnt lgkmcnt(0)
	s_barrier
	v_sub_u32_e32 v9, 0, v2
	ds_read_u16 v5, v8
	ds_read_u16 v6, v9 offset:4096
	v_cmp_ne_u32_e64 s[0:1], 0, v1
	s_waitcnt lgkmcnt(0)
	v_add_f16_e32 v11, v6, v5
	v_sub_f16_e32 v10, v5, v6
                                        ; implicit-def: $vgpr5_vgpr6
	s_and_saveexec_b64 s[4:5], s[0:1]
	s_xor_b64 s[0:1], exec, s[4:5]
	s_cbranch_execz .LBB0_15
; %bb.14:
	global_load_dword v5, v2, s[8:9] offset:4064
	ds_read_u16 v6, v9 offset:4098
	ds_read_u16 v12, v8 offset:2
	v_mov_b32_e32 v2, 0
	s_waitcnt lgkmcnt(0)
	v_add_f16_e32 v13, v6, v12
	v_sub_f16_e32 v6, v12, v6
	s_waitcnt vmcnt(0)
	v_lshrrev_b32_e32 v12, 16, v5
	v_fma_f16 v14, v10, v12, v11
	v_fma_f16 v15, v13, v12, v6
	v_fma_f16 v11, -v10, v12, v11
	v_fma_f16 v6, v13, v12, -v6
	v_fma_f16 v12, -v5, v13, v14
	v_fma_f16 v14, v10, v5, v15
	v_fma_f16 v11, v5, v13, v11
	;; [unrolled: 1-line block ×3, first 2 shown]
	v_pack_b32_f16 v6, v12, v14
	v_pack_b32_f16 v5, v11, v5
	ds_write_b32 v8, v6
	ds_write_b32 v9, v5 offset:4096
	v_mov_b32_e32 v6, v2
	v_mov_b32_e32 v5, v1
                                        ; implicit-def: $vgpr11
                                        ; implicit-def: $vgpr10
.LBB0_15:
	s_andn2_saveexec_b64 s[0:1], s[0:1]
	s_cbranch_execz .LBB0_17
; %bb.16:
	v_pack_b32_f16 v2, v11, v10
	ds_write_b32 v8, v2
	v_mov_b32_e32 v2, 0
	ds_read_b32 v5, v2 offset:2048
	s_mov_b32 s4, 0xc0004000
	s_waitcnt lgkmcnt(0)
	v_pk_mul_f16 v10, v5, s4
	v_mov_b32_e32 v5, 0
	v_mov_b32_e32 v6, 0
	ds_write_b32 v2, v10 offset:2048
.LBB0_17:
	s_or_b64 exec, exec, s[0:1]
	s_add_u32 s0, s8, 0xfe0
	v_lshlrev_b64 v[5:6], 2, v[5:6]
	s_addc_u32 s1, s9, 0
	v_mov_b32_e32 v2, s1
	v_add_co_u32_e64 v5, s[0:1], s0, v5
	v_addc_co_u32_e64 v6, s[0:1], v2, v6, s[0:1]
	global_load_dword v2, v[5:6], off offset:512
	global_load_dword v10, v[5:6], off offset:1024
	;; [unrolled: 1-line block ×3, first 2 shown]
	ds_read_b32 v5, v8 offset:512
	ds_read_b32 v6, v9 offset:3584
	s_movk_i32 s1, 0x39a8
	s_mov_b32 s0, 0xb9a8
	s_waitcnt lgkmcnt(0)
	v_add_f16_e32 v12, v5, v6
	v_add_f16_sdwa v13, v6, v5 dst_sel:DWORD dst_unused:UNUSED_PAD src0_sel:WORD_1 src1_sel:WORD_1
	v_sub_f16_e32 v14, v5, v6
	v_sub_f16_sdwa v5, v5, v6 dst_sel:DWORD dst_unused:UNUSED_PAD src0_sel:WORD_1 src1_sel:WORD_1
	s_waitcnt vmcnt(2)
	v_lshrrev_b32_e32 v6, 16, v2
	v_fma_f16 v15, v14, v6, v12
	v_fma_f16 v16, v13, v6, v5
	v_fma_f16 v12, -v14, v6, v12
	v_fma_f16 v5, v13, v6, -v5
	v_fma_f16 v6, -v2, v13, v15
	v_fma_f16 v15, v14, v2, v16
	v_fma_f16 v12, v2, v13, v12
	;; [unrolled: 1-line block ×3, first 2 shown]
	v_pack_b32_f16 v5, v6, v15
	v_pack_b32_f16 v2, v12, v2
	ds_write_b32 v8, v5 offset:512
	ds_write_b32 v9, v2 offset:3584
	ds_read_b32 v2, v8 offset:1024
	ds_read_b32 v5, v9 offset:3072
	s_waitcnt vmcnt(1)
	v_lshrrev_b32_e32 v6, 16, v10
	s_waitcnt lgkmcnt(0)
	v_add_f16_e32 v12, v2, v5
	v_add_f16_sdwa v13, v5, v2 dst_sel:DWORD dst_unused:UNUSED_PAD src0_sel:WORD_1 src1_sel:WORD_1
	v_sub_f16_e32 v14, v2, v5
	v_sub_f16_sdwa v2, v2, v5 dst_sel:DWORD dst_unused:UNUSED_PAD src0_sel:WORD_1 src1_sel:WORD_1
	v_fma_f16 v5, v14, v6, v12
	v_fma_f16 v15, v13, v6, v2
	v_fma_f16 v12, -v14, v6, v12
	v_fma_f16 v2, v13, v6, -v2
	v_fma_f16 v5, -v10, v13, v5
	v_fma_f16 v6, v14, v10, v15
	v_fma_f16 v12, v10, v13, v12
	;; [unrolled: 1-line block ×3, first 2 shown]
	v_pack_b32_f16 v5, v5, v6
	v_pack_b32_f16 v2, v12, v2
	ds_write_b32 v8, v5 offset:1024
	ds_write_b32 v9, v2 offset:3072
	ds_read_b32 v2, v8 offset:1536
	ds_read_b32 v5, v9 offset:2560
	s_waitcnt vmcnt(0)
	v_lshrrev_b32_e32 v6, 16, v11
	s_waitcnt lgkmcnt(0)
	v_add_f16_e32 v10, v2, v5
	v_add_f16_sdwa v12, v5, v2 dst_sel:DWORD dst_unused:UNUSED_PAD src0_sel:WORD_1 src1_sel:WORD_1
	v_sub_f16_e32 v13, v2, v5
	v_sub_f16_sdwa v2, v2, v5 dst_sel:DWORD dst_unused:UNUSED_PAD src0_sel:WORD_1 src1_sel:WORD_1
	v_fma_f16 v5, v13, v6, v10
	v_fma_f16 v14, v12, v6, v2
	v_fma_f16 v10, -v13, v6, v10
	v_fma_f16 v2, v12, v6, -v2
	v_fma_f16 v5, -v11, v12, v5
	v_fma_f16 v6, v13, v11, v14
	v_fma_f16 v10, v11, v12, v10
	;; [unrolled: 1-line block ×3, first 2 shown]
	v_pack_b32_f16 v5, v5, v6
	v_pack_b32_f16 v2, v10, v2
	ds_write_b32 v8, v5 offset:1536
	ds_write_b32 v9, v2 offset:2560
	s_waitcnt lgkmcnt(0)
	s_barrier
	s_barrier
	ds_read2st64_b32 v[5:6], v8 offset1:2
	ds_read2st64_b32 v[9:10], v8 offset0:4 offset1:6
	ds_read2st64_b32 v[11:12], v8 offset0:8 offset1:10
	;; [unrolled: 1-line block ×3, first 2 shown]
	v_mad_u32_u24 v2, v1, 28, v8
	s_waitcnt lgkmcnt(0)
	s_barrier
	v_pk_add_f16 v11, v5, v11 neg_lo:[0,1] neg_hi:[0,1]
	v_pk_add_f16 v12, v6, v12 neg_lo:[0,1] neg_hi:[0,1]
	;; [unrolled: 1-line block ×4, first 2 shown]
	v_lshrrev_b32_e32 v16, 16, v11
	v_lshrrev_b32_e32 v18, 16, v12
	v_pk_fma_f16 v9, v9, 2.0, v13 op_sel_hi:[1,0,1] neg_lo:[0,0,1] neg_hi:[0,0,1]
	v_pk_fma_f16 v10, v10, 2.0, v14 op_sel_hi:[1,0,1] neg_lo:[0,0,1] neg_hi:[0,0,1]
	v_sub_f16_sdwa v15, v11, v13 dst_sel:DWORD dst_unused:UNUSED_PAD src0_sel:DWORD src1_sel:WORD_1
	v_sub_f16_sdwa v17, v12, v14 dst_sel:DWORD dst_unused:UNUSED_PAD src0_sel:DWORD src1_sel:WORD_1
	v_add_f16_e32 v13, v16, v13
	v_add_f16_e32 v14, v18, v14
	v_pk_fma_f16 v5, v5, 2.0, v11 op_sel_hi:[1,0,1] neg_lo:[0,0,1] neg_hi:[0,0,1]
	v_pk_fma_f16 v6, v6, 2.0, v12 op_sel_hi:[1,0,1] neg_lo:[0,0,1] neg_hi:[0,0,1]
	v_fma_f16 v11, v11, 2.0, -v15
	v_fma_f16 v12, v12, 2.0, -v17
	v_fma_f16 v19, v17, s1, v15
	v_fma_f16 v16, v16, 2.0, -v13
	v_fma_f16 v18, v18, 2.0, -v14
	v_pk_add_f16 v9, v5, v9 neg_lo:[0,1] neg_hi:[0,1]
	v_pk_add_f16 v10, v6, v10 neg_lo:[0,1] neg_hi:[0,1]
	v_fma_f16 v20, v12, s0, v11
	v_fma_f16 v23, v14, s1, v13
	;; [unrolled: 1-line block ×4, first 2 shown]
	v_pk_fma_f16 v5, v5, 2.0, v9 op_sel_hi:[1,0,1] neg_lo:[0,0,1] neg_hi:[0,0,1]
	v_pk_fma_f16 v6, v6, 2.0, v10 op_sel_hi:[1,0,1] neg_lo:[0,0,1] neg_hi:[0,0,1]
	v_lshrrev_b32_e32 v22, 16, v9
	v_fma_f16 v18, v18, s0, v20
	v_fma_f16 v12, v12, s1, v19
	v_sub_f16_sdwa v21, v9, v10 dst_sel:DWORD dst_unused:UNUSED_PAD src0_sel:DWORD src1_sel:WORD_1
	v_pk_add_f16 v6, v5, v6 neg_lo:[0,1] neg_hi:[0,1]
	v_add_f16_e32 v10, v22, v10
	v_fma_f16 v17, v17, s1, v23
	v_fma_f16 v11, v11, 2.0, -v18
	v_fma_f16 v16, v16, 2.0, -v12
	v_fma_f16 v9, v9, 2.0, -v21
	v_pk_fma_f16 v5, v5, 2.0, v6 op_sel_hi:[1,0,1] neg_lo:[0,0,1] neg_hi:[0,0,1]
	v_fma_f16 v19, v22, 2.0, -v10
	v_fma_f16 v15, v15, 2.0, -v14
	;; [unrolled: 1-line block ×3, first 2 shown]
	v_pack_b32_f16 v11, v11, v16
	ds_write2_b32 v2, v5, v11 offset1:1
	v_pack_b32_f16 v5, v15, v13
	v_pack_b32_f16 v9, v9, v19
	ds_write2_b32 v2, v9, v5 offset0:2 offset1:3
	v_pack_b32_f16 v5, v18, v12
	ds_write2_b32 v2, v6, v5 offset0:4 offset1:5
	v_pack_b32_f16 v5, v14, v17
	v_pack_b32_f16 v6, v21, v10
	ds_write2_b32 v2, v6, v5 offset0:6 offset1:7
	v_and_b32_e32 v2, 7, v0
	v_mul_u32_u24_e32 v5, 7, v2
	v_lshlrev_b32_e32 v5, 2, v5
	s_waitcnt lgkmcnt(0)
	s_barrier
	global_load_dwordx4 v[9:12], v5, s[8:9]
	global_load_dwordx3 v[13:15], v5, s[8:9] offset:16
	ds_read2st64_b32 v[5:6], v8 offset0:12 offset1:14
	ds_read2st64_b32 v[16:17], v8 offset1:2
	ds_read2st64_b32 v[18:19], v8 offset0:4 offset1:6
	ds_read2st64_b32 v[20:21], v8 offset0:8 offset1:10
	s_waitcnt lgkmcnt(0)
	v_lshrrev_b32_e32 v22, 16, v6
	v_lshrrev_b32_e32 v23, 16, v17
	;; [unrolled: 1-line block ×4, first 2 shown]
	s_waitcnt vmcnt(0)
	s_barrier
	v_and_b32_e32 v0, 63, v0
	v_mul_f16_sdwa v26, v10, v24 dst_sel:DWORD dst_unused:UNUSED_PAD src0_sel:WORD_1 src1_sel:DWORD
	v_mul_f16_sdwa v27, v10, v18 dst_sel:DWORD dst_unused:UNUSED_PAD src0_sel:WORD_1 src1_sel:DWORD
	;; [unrolled: 1-line block ×3, first 2 shown]
	v_fma_f16 v18, v10, v18, -v26
	v_fma_f16 v10, v10, v24, v27
	v_mul_f16_sdwa v24, v9, v17 dst_sel:DWORD dst_unused:UNUSED_PAD src0_sel:WORD_1 src1_sel:DWORD
	v_fma_f16 v26, v11, v19, -v28
	v_mul_f16_sdwa v19, v11, v19 dst_sel:DWORD dst_unused:UNUSED_PAD src0_sel:WORD_1 src1_sel:DWORD
	v_lshrrev_b32_e32 v28, 16, v20
	v_fma_f16 v24, v9, v23, v24
	v_mul_f16_sdwa v23, v9, v23 dst_sel:DWORD dst_unused:UNUSED_PAD src0_sel:WORD_1 src1_sel:DWORD
	v_fma_f16 v11, v11, v25, v19
	v_mul_f16_sdwa v19, v12, v20 dst_sel:DWORD dst_unused:UNUSED_PAD src0_sel:WORD_1 src1_sel:DWORD
	v_mul_f16_sdwa v25, v12, v28 dst_sel:DWORD dst_unused:UNUSED_PAD src0_sel:WORD_1 src1_sel:DWORD
	v_fma_f16 v9, v9, v17, -v23
	v_lshrrev_b32_e32 v17, 16, v21
	v_fma_f16 v19, v12, v28, v19
	v_fma_f16 v12, v12, v20, -v25
	v_lshrrev_b32_e32 v20, 16, v5
	v_mul_f16_sdwa v23, v13, v17 dst_sel:DWORD dst_unused:UNUSED_PAD src0_sel:WORD_1 src1_sel:DWORD
	v_mul_f16_sdwa v25, v13, v21 dst_sel:DWORD dst_unused:UNUSED_PAD src0_sel:WORD_1 src1_sel:DWORD
	v_fma_f16 v21, v13, v21, -v23
	v_mul_f16_sdwa v23, v14, v20 dst_sel:DWORD dst_unused:UNUSED_PAD src0_sel:WORD_1 src1_sel:DWORD
	v_mul_f16_sdwa v27, v22, v15 dst_sel:DWORD dst_unused:UNUSED_PAD src0_sel:DWORD src1_sel:WORD_1
	v_fma_f16 v23, v14, v5, -v23
	v_fma_f16 v27, v6, v15, -v27
	v_mul_f16_sdwa v5, v14, v5 dst_sel:DWORD dst_unused:UNUSED_PAD src0_sel:WORD_1 src1_sel:DWORD
	v_mul_f16_sdwa v6, v6, v15 dst_sel:DWORD dst_unused:UNUSED_PAD src0_sel:DWORD src1_sel:WORD_1
	v_fma_f16 v13, v13, v17, v25
	v_fma_f16 v5, v14, v20, v5
	v_lshrrev_b32_e32 v14, 16, v16
	v_fma_f16 v6, v22, v15, v6
	v_sub_f16_e32 v12, v16, v12
	v_sub_f16_e32 v15, v14, v19
	;; [unrolled: 1-line block ×8, first 2 shown]
	v_fma_f16 v18, v18, 2.0, -v19
	v_fma_f16 v10, v10, 2.0, -v5
	;; [unrolled: 1-line block ×4, first 2 shown]
	v_sub_f16_e32 v5, v12, v5
	v_add_f16_e32 v19, v15, v19
	v_sub_f16_e32 v6, v20, v6
	v_add_f16_e32 v21, v13, v21
	v_fma_f16 v16, v16, 2.0, -v12
	v_fma_f16 v14, v14, 2.0, -v15
	;; [unrolled: 1-line block ×8, first 2 shown]
	v_fma_f16 v24, v20, s0, v12
	v_fma_f16 v25, v13, s0, v15
	v_sub_f16_e32 v18, v16, v18
	v_sub_f16_e32 v10, v14, v10
	;; [unrolled: 1-line block ×4, first 2 shown]
	v_fma_f16 v13, v13, s0, v24
	v_fma_f16 v20, v20, s1, v25
	;; [unrolled: 1-line block ×4, first 2 shown]
	v_lshlrev_b32_e32 v17, 3, v1
	v_fma_f16 v9, v9, 2.0, -v23
	v_fma_f16 v22, v22, 2.0, -v11
	v_sub_f16_e32 v11, v18, v11
	v_add_f16_e32 v23, v10, v23
	v_fma_f16 v21, v21, s0, v24
	v_fma_f16 v6, v6, s1, v25
	s_movk_i32 s0, 0x3c0
	v_fma_f16 v16, v16, 2.0, -v18
	v_fma_f16 v14, v14, 2.0, -v10
	;; [unrolled: 1-line block ×6, first 2 shown]
	v_and_or_b32 v2, v17, s0, v2
	v_sub_f16_e32 v9, v16, v9
	v_sub_f16_e32 v22, v14, v22
	v_lshl_add_u32 v2, v2, 2, 0
	v_pack_b32_f16 v10, v18, v10
	v_pack_b32_f16 v5, v5, v19
	v_fma_f16 v16, v16, 2.0, -v9
	v_fma_f16 v14, v14, 2.0, -v22
	;; [unrolled: 1-line block ×4, first 2 shown]
	ds_write2_b32 v2, v10, v5 offset0:16 offset1:24
	v_pack_b32_f16 v5, v9, v22
	v_pack_b32_f16 v9, v13, v20
	;; [unrolled: 1-line block ×4, first 2 shown]
	ds_write2_b32 v2, v5, v9 offset0:32 offset1:40
	v_pack_b32_f16 v5, v11, v23
	v_pack_b32_f16 v6, v21, v6
	ds_write2_b32 v2, v14, v12 offset1:8
	ds_write2_b32 v2, v5, v6 offset0:48 offset1:56
	v_mul_u32_u24_e32 v2, 3, v0
	v_lshlrev_b32_e32 v2, 2, v2
	s_waitcnt lgkmcnt(0)
	s_barrier
	global_load_dwordx3 v[9:11], v2, s[8:9] offset:224
	ds_read2st64_b32 v[5:6], v8 offset0:4 offset1:6
	ds_read2st64_b32 v[12:13], v8 offset0:8 offset1:10
	;; [unrolled: 1-line block ×3, first 2 shown]
	ds_read2st64_b32 v[16:17], v8 offset1:2
	s_movk_i32 s0, 0x100
	s_waitcnt lgkmcnt(3)
	v_lshrrev_b32_e32 v2, 16, v5
	v_lshrrev_b32_e32 v20, 16, v6
	s_waitcnt lgkmcnt(1)
	v_lshrrev_b32_e32 v19, 16, v14
	v_lshrrev_b32_e32 v21, 16, v13
	;; [unrolled: 1-line block ×4, first 2 shown]
	s_waitcnt vmcnt(0) lgkmcnt(0)
	s_barrier
	v_mul_f16_sdwa v23, v9, v2 dst_sel:DWORD dst_unused:UNUSED_PAD src0_sel:WORD_1 src1_sel:DWORD
	v_mul_f16_sdwa v28, v9, v20 dst_sel:DWORD dst_unused:UNUSED_PAD src0_sel:WORD_1 src1_sel:DWORD
	v_mul_f16_sdwa v24, v9, v5 dst_sel:DWORD dst_unused:UNUSED_PAD src0_sel:WORD_1 src1_sel:DWORD
	v_fma_f16 v5, v9, v5, -v23
	v_fma_f16 v23, v9, v6, -v28
	v_mul_f16_sdwa v28, v11, v14 dst_sel:DWORD dst_unused:UNUSED_PAD src0_sel:WORD_1 src1_sel:DWORD
	v_mul_f16_sdwa v26, v10, v12 dst_sel:DWORD dst_unused:UNUSED_PAD src0_sel:WORD_1 src1_sel:DWORD
	;; [unrolled: 1-line block ×4, first 2 shown]
	v_fma_f16 v2, v9, v2, v24
	v_mul_f16_sdwa v24, v10, v21 dst_sel:DWORD dst_unused:UNUSED_PAD src0_sel:WORD_1 src1_sel:DWORD
	v_fma_f16 v19, v11, v19, v28
	v_mul_f16_sdwa v28, v11, v22 dst_sel:DWORD dst_unused:UNUSED_PAD src0_sel:WORD_1 src1_sel:DWORD
	v_mul_f16_sdwa v25, v10, v18 dst_sel:DWORD dst_unused:UNUSED_PAD src0_sel:WORD_1 src1_sel:DWORD
	v_fma_f16 v18, v10, v18, v26
	v_mul_f16_sdwa v26, v10, v13 dst_sel:DWORD dst_unused:UNUSED_PAD src0_sel:WORD_1 src1_sel:DWORD
	v_fma_f16 v6, v9, v20, v6
	v_fma_f16 v9, v10, v13, -v24
	v_fma_f16 v13, v11, v15, -v28
	v_mul_f16_sdwa v15, v11, v15 dst_sel:DWORD dst_unused:UNUSED_PAD src0_sel:WORD_1 src1_sel:DWORD
	v_fma_f16 v12, v10, v12, -v25
	v_fma_f16 v14, v11, v14, -v27
	v_fma_f16 v11, v11, v22, v15
	v_lshrrev_b32_e32 v15, 16, v16
	v_sub_f16_e32 v12, v16, v12
	v_sub_f16_e32 v18, v15, v18
	;; [unrolled: 1-line block ×4, first 2 shown]
	v_fma_f16 v16, v16, 2.0, -v12
	v_fma_f16 v15, v15, 2.0, -v18
	;; [unrolled: 1-line block ×4, first 2 shown]
	v_fma_f16 v10, v10, v21, v26
	v_sub_f16_e32 v5, v16, v5
	v_sub_f16_e32 v2, v15, v2
	;; [unrolled: 1-line block ×3, first 2 shown]
	v_add_f16_e32 v14, v18, v14
	v_lshrrev_b32_e32 v20, 16, v17
	v_and_or_b32 v22, v7, s0, v0
	v_fma_f16 v16, v16, 2.0, -v5
	v_fma_f16 v15, v15, 2.0, -v2
	v_sub_f16_e32 v9, v17, v9
	v_sub_f16_e32 v10, v20, v10
	;; [unrolled: 1-line block ×4, first 2 shown]
	v_lshl_add_u32 v22, v22, 2, 0
	v_pack_b32_f16 v2, v5, v2
	v_pack_b32_f16 v5, v19, v14
	v_fma_f16 v17, v17, 2.0, -v9
	v_fma_f16 v20, v20, 2.0, -v10
	;; [unrolled: 1-line block ×4, first 2 shown]
	ds_write2st64_b32 v22, v2, v5 offset0:2 offset1:3
	v_mov_b32_e32 v2, 0x200
	v_sub_f16_e32 v21, v17, v21
	v_sub_f16_e32 v6, v20, v6
	;; [unrolled: 1-line block ×3, first 2 shown]
	v_add_f16_e32 v13, v10, v13
	v_lshl_or_b32 v2, v1, 2, v2
	s_movk_i32 s0, 0x300
	v_fma_f16 v17, v17, 2.0, -v21
	v_fma_f16 v20, v20, 2.0, -v6
	;; [unrolled: 1-line block ×4, first 2 shown]
	v_and_or_b32 v0, v2, s0, v0
	v_lshl_add_u32 v0, v0, 2, 0
	v_pack_b32_f16 v2, v17, v20
	v_pack_b32_f16 v5, v9, v10
	ds_write2st64_b32 v0, v2, v5 offset1:1
	v_pack_b32_f16 v2, v21, v6
	v_pack_b32_f16 v5, v11, v13
	v_fma_f16 v12, v12, 2.0, -v19
	v_fma_f16 v18, v18, 2.0, -v14
	ds_write2st64_b32 v0, v2, v5 offset0:2 offset1:3
	v_mul_u32_u24_e32 v0, 3, v1
	v_pack_b32_f16 v15, v16, v15
	v_pack_b32_f16 v12, v12, v18
	v_lshlrev_b32_e32 v0, 2, v0
	ds_write2st64_b32 v22, v15, v12 offset1:1
	s_waitcnt lgkmcnt(0)
	s_barrier
	global_load_dwordx3 v[9:11], v0, s[8:9] offset:992
	global_load_dwordx3 v[12:14], v0, s[8:9] offset:2528
	ds_read2st64_b32 v[5:6], v8 offset0:4 offset1:6
	ds_read2st64_b32 v[15:16], v8 offset0:8 offset1:10
	;; [unrolled: 1-line block ×3, first 2 shown]
	ds_read2st64_b32 v[19:20], v8 offset1:2
	ds_read_u16 v0, v8 offset:3586
	s_waitcnt lgkmcnt(4)
	v_lshrrev_b32_e32 v2, 16, v5
	s_waitcnt lgkmcnt(3)
	v_lshrrev_b32_e32 v21, 16, v15
	;; [unrolled: 2-line block ×3, first 2 shown]
	s_waitcnt vmcnt(0) lgkmcnt(0)
	s_barrier
	v_mul_f16_sdwa v23, v9, v2 dst_sel:DWORD dst_unused:UNUSED_PAD src0_sel:WORD_1 src1_sel:DWORD
	v_mul_f16_sdwa v24, v9, v5 dst_sel:DWORD dst_unused:UNUSED_PAD src0_sel:WORD_1 src1_sel:DWORD
	;; [unrolled: 1-line block ×6, first 2 shown]
	v_fma_f16 v5, v9, v5, -v23
	v_fma_f16 v2, v9, v2, v24
	v_fma_f16 v9, v10, v15, -v25
	v_fma_f16 v15, v11, v17, -v27
	v_lshrrev_b32_e32 v17, 16, v6
	v_fma_f16 v10, v10, v21, v26
	v_mul_f16_sdwa v21, v12, v17 dst_sel:DWORD dst_unused:UNUSED_PAD src0_sel:WORD_1 src1_sel:DWORD
	v_fma_f16 v21, v12, v6, -v21
	v_mul_f16_sdwa v6, v12, v6 dst_sel:DWORD dst_unused:UNUSED_PAD src0_sel:WORD_1 src1_sel:DWORD
	v_fma_f16 v6, v12, v17, v6
	v_lshrrev_b32_e32 v12, 16, v16
	v_mul_f16_sdwa v17, v13, v12 dst_sel:DWORD dst_unused:UNUSED_PAD src0_sel:WORD_1 src1_sel:DWORD
	v_fma_f16 v17, v13, v16, -v17
	v_mul_f16_sdwa v16, v13, v16 dst_sel:DWORD dst_unused:UNUSED_PAD src0_sel:WORD_1 src1_sel:DWORD
	v_fma_f16 v12, v13, v12, v16
	v_mul_f16_sdwa v13, v0, v14 dst_sel:DWORD dst_unused:UNUSED_PAD src0_sel:DWORD src1_sel:WORD_1
	v_mul_f16_sdwa v16, v14, v18 dst_sel:DWORD dst_unused:UNUSED_PAD src0_sel:WORD_1 src1_sel:DWORD
	v_fma_f16 v11, v11, v22, v28
	v_fma_f16 v13, v14, v18, -v13
	v_fma_f16 v0, v0, v14, v16
	v_lshrrev_b32_e32 v14, 16, v19
	v_lshrrev_b32_e32 v18, 16, v20
	v_sub_f16_e32 v9, v19, v9
	v_sub_f16_e32 v10, v14, v10
	;; [unrolled: 1-line block ×8, first 2 shown]
	v_fma_f16 v16, v19, 2.0, -v9
	v_fma_f16 v14, v14, 2.0, -v10
	v_fma_f16 v5, v5, 2.0, -v15
	v_fma_f16 v2, v2, 2.0, -v11
	v_fma_f16 v19, v20, 2.0, -v17
	v_fma_f16 v18, v18, 2.0, -v12
	v_fma_f16 v20, v21, 2.0, -v13
	v_fma_f16 v6, v6, 2.0, -v0
	v_sub_f16_e32 v5, v16, v5
	v_sub_f16_e32 v2, v14, v2
	;; [unrolled: 1-line block ×3, first 2 shown]
	v_add_f16_e32 v15, v10, v15
	v_sub_f16_e32 v20, v19, v20
	v_sub_f16_e32 v6, v18, v6
	v_fma_f16 v16, v16, 2.0, -v5
	v_fma_f16 v14, v14, 2.0, -v2
	;; [unrolled: 1-line block ×4, first 2 shown]
	v_sub_f16_e32 v0, v17, v0
	v_add_f16_e32 v13, v12, v13
	v_pack_b32_f16 v2, v5, v2
	v_pack_b32_f16 v5, v11, v15
	v_fma_f16 v9, v9, 2.0, -v11
	v_fma_f16 v10, v10, 2.0, -v15
	;; [unrolled: 1-line block ×4, first 2 shown]
	v_pack_b32_f16 v14, v16, v14
	ds_write_b32 v8, v5 offset:3072
	v_pack_b32_f16 v5, v19, v18
	v_pack_b32_f16 v9, v9, v10
	ds_write2st64_b32 v8, v14, v5 offset1:2
	v_pack_b32_f16 v5, v17, v12
	ds_write2st64_b32 v8, v9, v5 offset0:4 offset1:6
	v_pack_b32_f16 v5, v20, v6
	ds_write2st64_b32 v8, v2, v5 offset0:8 offset1:10
	v_add_u32_e32 v2, 0, v7
	v_pack_b32_f16 v0, v0, v13
	ds_write_b32 v2, v0 offset:3584
	s_waitcnt lgkmcnt(0)
	s_barrier
	s_and_saveexec_b64 s[0:1], vcc
	s_cbranch_execz .LBB0_19
; %bb.18:
	v_lshl_add_u32 v0, v1, 2, 0
	v_mov_b32_e32 v2, 0
	ds_read2st64_b32 v[5:6], v0 offset1:2
	v_mov_b32_e32 v7, s3
	v_add_co_u32_e32 v8, vcc, s2, v3
	v_addc_co_u32_e32 v7, vcc, v7, v4, vcc
	v_lshlrev_b64 v[3:4], 2, v[1:2]
	v_add_co_u32_e32 v3, vcc, v8, v3
	v_addc_co_u32_e32 v4, vcc, v7, v4, vcc
	s_waitcnt lgkmcnt(0)
	global_store_dword v[3:4], v5, off
	v_add_u32_e32 v3, 0x80, v1
	v_mov_b32_e32 v4, v2
	v_lshlrev_b64 v[3:4], 2, v[3:4]
	v_add_co_u32_e32 v3, vcc, v8, v3
	v_addc_co_u32_e32 v4, vcc, v7, v4, vcc
	global_store_dword v[3:4], v6, off
	v_add_u32_e32 v3, 0x100, v1
	v_mov_b32_e32 v4, v2
	ds_read2st64_b32 v[5:6], v0 offset0:4 offset1:6
	v_lshlrev_b64 v[3:4], 2, v[3:4]
	v_add_co_u32_e32 v3, vcc, v8, v3
	v_addc_co_u32_e32 v4, vcc, v7, v4, vcc
	s_waitcnt lgkmcnt(0)
	global_store_dword v[3:4], v5, off
	v_add_u32_e32 v3, 0x180, v1
	v_mov_b32_e32 v4, v2
	v_lshlrev_b64 v[3:4], 2, v[3:4]
	v_add_co_u32_e32 v3, vcc, v8, v3
	v_addc_co_u32_e32 v4, vcc, v7, v4, vcc
	global_store_dword v[3:4], v6, off
	v_add_u32_e32 v3, 0x200, v1
	v_mov_b32_e32 v4, v2
	ds_read2st64_b32 v[5:6], v0 offset0:8 offset1:10
	v_lshlrev_b64 v[3:4], 2, v[3:4]
	v_add_co_u32_e32 v3, vcc, v8, v3
	v_addc_co_u32_e32 v4, vcc, v7, v4, vcc
	s_waitcnt lgkmcnt(0)
	global_store_dword v[3:4], v5, off
	v_add_u32_e32 v3, 0x280, v1
	v_mov_b32_e32 v4, v2
	v_lshlrev_b64 v[3:4], 2, v[3:4]
	v_add_co_u32_e32 v3, vcc, v8, v3
	v_addc_co_u32_e32 v4, vcc, v7, v4, vcc
	global_store_dword v[3:4], v6, off
	v_add_u32_e32 v3, 0x300, v1
	v_mov_b32_e32 v4, v2
	v_lshlrev_b64 v[3:4], 2, v[3:4]
	ds_read2st64_b32 v[5:6], v0 offset0:12 offset1:14
	v_add_u32_e32 v1, 0x380, v1
	v_add_co_u32_e32 v3, vcc, v8, v3
	v_lshlrev_b64 v[0:1], 2, v[1:2]
	v_addc_co_u32_e32 v4, vcc, v7, v4, vcc
	v_add_co_u32_e32 v0, vcc, v8, v0
	v_addc_co_u32_e32 v1, vcc, v7, v1, vcc
	s_waitcnt lgkmcnt(0)
	global_store_dword v[3:4], v5, off
	global_store_dword v[0:1], v6, off
.LBB0_19:
	s_endpgm
	.section	.rodata,"a",@progbits
	.p2align	6, 0x0
	.amdhsa_kernel fft_rtc_fwd_len1024_factors_8_8_4_4_wgs_128_tpt_128_halfLds_half_ip_CI_unitstride_sbrr_C2R_dirReg
		.amdhsa_group_segment_fixed_size 0
		.amdhsa_private_segment_fixed_size 0
		.amdhsa_kernarg_size 88
		.amdhsa_user_sgpr_count 6
		.amdhsa_user_sgpr_private_segment_buffer 1
		.amdhsa_user_sgpr_dispatch_ptr 0
		.amdhsa_user_sgpr_queue_ptr 0
		.amdhsa_user_sgpr_kernarg_segment_ptr 1
		.amdhsa_user_sgpr_dispatch_id 0
		.amdhsa_user_sgpr_flat_scratch_init 0
		.amdhsa_user_sgpr_private_segment_size 0
		.amdhsa_uses_dynamic_stack 0
		.amdhsa_system_sgpr_private_segment_wavefront_offset 0
		.amdhsa_system_sgpr_workgroup_id_x 1
		.amdhsa_system_sgpr_workgroup_id_y 0
		.amdhsa_system_sgpr_workgroup_id_z 0
		.amdhsa_system_sgpr_workgroup_info 0
		.amdhsa_system_vgpr_workitem_id 0
		.amdhsa_next_free_vgpr 29
		.amdhsa_next_free_sgpr 22
		.amdhsa_reserve_vcc 1
		.amdhsa_reserve_flat_scratch 0
		.amdhsa_float_round_mode_32 0
		.amdhsa_float_round_mode_16_64 0
		.amdhsa_float_denorm_mode_32 3
		.amdhsa_float_denorm_mode_16_64 3
		.amdhsa_dx10_clamp 1
		.amdhsa_ieee_mode 1
		.amdhsa_fp16_overflow 0
		.amdhsa_exception_fp_ieee_invalid_op 0
		.amdhsa_exception_fp_denorm_src 0
		.amdhsa_exception_fp_ieee_div_zero 0
		.amdhsa_exception_fp_ieee_overflow 0
		.amdhsa_exception_fp_ieee_underflow 0
		.amdhsa_exception_fp_ieee_inexact 0
		.amdhsa_exception_int_div_zero 0
	.end_amdhsa_kernel
	.text
.Lfunc_end0:
	.size	fft_rtc_fwd_len1024_factors_8_8_4_4_wgs_128_tpt_128_halfLds_half_ip_CI_unitstride_sbrr_C2R_dirReg, .Lfunc_end0-fft_rtc_fwd_len1024_factors_8_8_4_4_wgs_128_tpt_128_halfLds_half_ip_CI_unitstride_sbrr_C2R_dirReg
                                        ; -- End function
	.section	.AMDGPU.csdata,"",@progbits
; Kernel info:
; codeLenInByte = 5024
; NumSgprs: 26
; NumVgprs: 29
; ScratchSize: 0
; MemoryBound: 0
; FloatMode: 240
; IeeeMode: 1
; LDSByteSize: 0 bytes/workgroup (compile time only)
; SGPRBlocks: 3
; VGPRBlocks: 7
; NumSGPRsForWavesPerEU: 26
; NumVGPRsForWavesPerEU: 29
; Occupancy: 8
; WaveLimiterHint : 1
; COMPUTE_PGM_RSRC2:SCRATCH_EN: 0
; COMPUTE_PGM_RSRC2:USER_SGPR: 6
; COMPUTE_PGM_RSRC2:TRAP_HANDLER: 0
; COMPUTE_PGM_RSRC2:TGID_X_EN: 1
; COMPUTE_PGM_RSRC2:TGID_Y_EN: 0
; COMPUTE_PGM_RSRC2:TGID_Z_EN: 0
; COMPUTE_PGM_RSRC2:TIDIG_COMP_CNT: 0
	.type	__hip_cuid_abd151f76758d133,@object ; @__hip_cuid_abd151f76758d133
	.section	.bss,"aw",@nobits
	.globl	__hip_cuid_abd151f76758d133
__hip_cuid_abd151f76758d133:
	.byte	0                               ; 0x0
	.size	__hip_cuid_abd151f76758d133, 1

	.ident	"AMD clang version 19.0.0git (https://github.com/RadeonOpenCompute/llvm-project roc-6.4.0 25133 c7fe45cf4b819c5991fe208aaa96edf142730f1d)"
	.section	".note.GNU-stack","",@progbits
	.addrsig
	.addrsig_sym __hip_cuid_abd151f76758d133
	.amdgpu_metadata
---
amdhsa.kernels:
  - .args:
      - .actual_access:  read_only
        .address_space:  global
        .offset:         0
        .size:           8
        .value_kind:     global_buffer
      - .offset:         8
        .size:           8
        .value_kind:     by_value
      - .actual_access:  read_only
        .address_space:  global
        .offset:         16
        .size:           8
        .value_kind:     global_buffer
      - .actual_access:  read_only
        .address_space:  global
        .offset:         24
        .size:           8
        .value_kind:     global_buffer
      - .offset:         32
        .size:           8
        .value_kind:     by_value
      - .actual_access:  read_only
        .address_space:  global
        .offset:         40
        .size:           8
        .value_kind:     global_buffer
      - .actual_access:  read_only
        .address_space:  global
        .offset:         48
        .size:           8
        .value_kind:     global_buffer
      - .offset:         56
        .size:           4
        .value_kind:     by_value
      - .actual_access:  read_only
        .address_space:  global
        .offset:         64
        .size:           8
        .value_kind:     global_buffer
      - .actual_access:  read_only
        .address_space:  global
        .offset:         72
        .size:           8
        .value_kind:     global_buffer
      - .address_space:  global
        .offset:         80
        .size:           8
        .value_kind:     global_buffer
    .group_segment_fixed_size: 0
    .kernarg_segment_align: 8
    .kernarg_segment_size: 88
    .language:       OpenCL C
    .language_version:
      - 2
      - 0
    .max_flat_workgroup_size: 128
    .name:           fft_rtc_fwd_len1024_factors_8_8_4_4_wgs_128_tpt_128_halfLds_half_ip_CI_unitstride_sbrr_C2R_dirReg
    .private_segment_fixed_size: 0
    .sgpr_count:     26
    .sgpr_spill_count: 0
    .symbol:         fft_rtc_fwd_len1024_factors_8_8_4_4_wgs_128_tpt_128_halfLds_half_ip_CI_unitstride_sbrr_C2R_dirReg.kd
    .uniform_work_group_size: 1
    .uses_dynamic_stack: false
    .vgpr_count:     29
    .vgpr_spill_count: 0
    .wavefront_size: 64
amdhsa.target:   amdgcn-amd-amdhsa--gfx906
amdhsa.version:
  - 1
  - 2
...

	.end_amdgpu_metadata
